;; amdgpu-corpus repo=linkedin/Liger-Kernel kind=triton arch=gfx950 opt=O3 lang=triton
	.amdgcn_target "amdgcn-amd-amdhsa--gfx950"
	.amdhsa_code_object_version 5
	.text
	.globl	_kldiv_kernel_backward          ; -- Begin function _kldiv_kernel_backward
	.p2align	8
	.type	_kldiv_kernel_backward,@function
_kldiv_kernel_backward:                 ; @_kldiv_kernel_backward
.Lfunc_begin0:
	.cfi_sections .debug_frame
	.cfi_startproc
; %bb.68:
	.file	1 "/root/src/amdgpu-assembly/repos/linkedin__Liger-Kernel/triton_aot_kernels" "kl_div_aot.py"
	.loc	1 55 0 prologue_end             ; kl_div_aot.py:55:0
	s_load_dwordx2 s[2:3], s[0:1], 0x0
	s_load_dwordx8 s[4:11], s[0:1], 0x8
	s_load_dwordx2 s[12:13], s[0:1], 0x28
	s_waitcnt lgkmcnt(0)
	s_branch .LBB0_0
	.loc	1 0 0 is_stmt 0                 ; :0:0
.Ltmp0:
	.p2align	8
; %bb.69:
.LBB0_0:
.Ltmp1:
	.loc	1 72 30 is_stmt 1               ; kl_div_aot.py:72:30
	s_cmp_lt_i32 s9, 1
	.loc	1 73 35                         ; kl_div_aot.py:73:35
	v_readfirstlane_b32 s0, v0
	.loc	1 72 30                         ; kl_div_aot.py:72:30
	s_cbranch_scc1 .LBB0_67
; %bb.1:                                ; %.lr.ph.preheader
	.loc	1 83 42                         ; kl_div_aot.py:83:42
	s_and_b32 s5, s0, 0xc0
	.loc	1 66 24                         ; kl_div_aot.py:66:24
	s_mul_hi_i32 s1, s4, s14
	s_mul_i32 s0, s4, s14
	.loc	1 66 18 is_stmt 0               ; kl_div_aot.py:66:18
	s_lshl_b64 s[0:1], s[0:1], 2
	s_add_u32 s34, s2, s0
	s_addc_u32 s35, s3, s1
	.loc	1 67 27 is_stmt 1               ; kl_div_aot.py:67:27
	s_mul_hi_i32 s1, s8, s14
	s_mul_i32 s0, s8, s14
	.loc	1 67 21 is_stmt 0               ; kl_div_aot.py:67:21
	s_lshl_b64 s[0:1], s[0:1], 2
	s_add_u32 s36, s6, s0
	s_addc_u32 s37, s7, s1
	.loc	1 76 25 is_stmt 1               ; kl_div_aot.py:76:25
	v_and_or_b32 v26, v0, 63, s5
	s_mov_b32 s8, 0
	s_branch .LBB0_3
.LBB0_2:                                ;   in Loop: Header=BB0_3 Depth=1
	.loc	1 0 25 is_stmt 0                ; kl_div_aot.py:0:25
	s_or_b64 exec, exec, s[0:1]
	.loc	1 72 30 is_stmt 1               ; kl_div_aot.py:72:30
	s_addk_i32 s8, 0x1000
	s_cmp_lt_i32 s8, s9
	s_cbranch_scc0 .LBB0_67
.LBB0_3:                                ; %.lr.ph
                                        ; =>This Inner Loop Header: Depth=1
	.loc	1 73 22                         ; kl_div_aot.py:73:22
	v_add_u32_e32 v0, s8, v26
	.loc	1 76 38                         ; kl_div_aot.py:76:38
	v_ashrrev_i32_e32 v1, 31, v0
	.loc	1 76 25 is_stmt 0               ; kl_div_aot.py:76:25
	s_waitcnt vmcnt(0)
	v_mov_b32_e32 v27, 0
	.loc	1 74 25 is_stmt 1               ; kl_div_aot.py:74:25
	v_cmp_gt_i32_e32 vcc, s9, v0
	.loc	1 76 38                         ; kl_div_aot.py:76:38
	v_lshl_add_u64 v[2:3], v[0:1], 2, s[34:35]
	v_mov_b32_e32 v28, v27
	.loc	1 76 25 is_stmt 0               ; kl_div_aot.py:76:25
	s_and_saveexec_b64 s[0:1], vcc
	s_cbranch_execz .LBB0_5
; %bb.4:                                ;   in Loop: Header=BB0_3 Depth=1
	global_load_dword v28, v[2:3], off
.LBB0_5:                                ;   in Loop: Header=BB0_3 Depth=1
	.loc	1 0 25                          ; kl_div_aot.py:0:25
	s_or_b64 exec, exec, s[0:1]
	.loc	1 73 22 is_stmt 1               ; kl_div_aot.py:73:22
	v_add_u32_e32 v4, 0x100, v0
	.loc	1 74 25                         ; kl_div_aot.py:74:25
	v_cmp_gt_i32_e64 s[0:1], s9, v4
	.loc	1 76 25                         ; kl_div_aot.py:76:25
	s_and_saveexec_b64 s[2:3], s[0:1]
	s_cbranch_execz .LBB0_7
; %bb.6:                                ;   in Loop: Header=BB0_3 Depth=1
	global_load_dword v27, v[2:3], off offset:1024
.LBB0_7:                                ;   in Loop: Header=BB0_3 Depth=1
	.loc	1 0 25 is_stmt 0                ; kl_div_aot.py:0:25
	s_or_b64 exec, exec, s[2:3]
	.loc	1 73 22 is_stmt 1               ; kl_div_aot.py:73:22
	v_add_u32_e32 v4, 0x200, v0
	.loc	1 76 25                         ; kl_div_aot.py:76:25
	v_mov_b32_e32 v29, 0
	.loc	1 74 25                         ; kl_div_aot.py:74:25
	v_cmp_gt_i32_e64 s[2:3], s9, v4
	v_mov_b32_e32 v30, v29
	.loc	1 76 25                         ; kl_div_aot.py:76:25
	s_and_saveexec_b64 s[4:5], s[2:3]
	s_cbranch_execz .LBB0_9
; %bb.8:                                ;   in Loop: Header=BB0_3 Depth=1
	global_load_dword v30, v[2:3], off offset:2048
.LBB0_9:                                ;   in Loop: Header=BB0_3 Depth=1
	.loc	1 0 25 is_stmt 0                ; kl_div_aot.py:0:25
	s_or_b64 exec, exec, s[4:5]
	.loc	1 73 22 is_stmt 1               ; kl_div_aot.py:73:22
	v_add_u32_e32 v4, 0x300, v0
	.loc	1 74 25                         ; kl_div_aot.py:74:25
	v_cmp_gt_i32_e64 s[4:5], s9, v4
	.loc	1 76 25                         ; kl_div_aot.py:76:25
	s_and_saveexec_b64 s[6:7], s[4:5]
	s_cbranch_execz .LBB0_11
; %bb.10:                               ;   in Loop: Header=BB0_3 Depth=1
	global_load_dword v29, v[2:3], off offset:3072
.LBB0_11:                               ;   in Loop: Header=BB0_3 Depth=1
	.loc	1 0 25 is_stmt 0                ; kl_div_aot.py:0:25
	s_or_b64 exec, exec, s[6:7]
	.loc	1 73 22 is_stmt 1               ; kl_div_aot.py:73:22
	v_add_u32_e32 v2, 0x400, v0
	.loc	1 76 25                         ; kl_div_aot.py:76:25
	v_mov_b32_e32 v31, 0
	.loc	1 74 25                         ; kl_div_aot.py:74:25
	v_cmp_gt_i32_e64 s[6:7], s9, v2
	.loc	1 76 38                         ; kl_div_aot.py:76:38
	v_ashrrev_i32_e32 v3, 31, v2
	v_mov_b32_e32 v32, v31
	.loc	1 76 25 is_stmt 0               ; kl_div_aot.py:76:25
	s_and_saveexec_b64 s[10:11], s[6:7]
	s_cbranch_execz .LBB0_13
; %bb.12:                               ;   in Loop: Header=BB0_3 Depth=1
	.loc	1 76 38                         ; kl_div_aot.py:76:38
	v_lshl_add_u64 v[4:5], v[2:3], 2, s[34:35]
	.loc	1 76 25                         ; kl_div_aot.py:76:25
	global_load_dword v32, v[4:5], off
.LBB0_13:                               ;   in Loop: Header=BB0_3 Depth=1
	.loc	1 0 25                          ; kl_div_aot.py:0:25
	s_or_b64 exec, exec, s[10:11]
	.loc	1 73 22 is_stmt 1               ; kl_div_aot.py:73:22
	v_add_u32_e32 v4, 0x500, v0
	.loc	1 74 25                         ; kl_div_aot.py:74:25
	v_cmp_gt_i32_e64 s[30:31], s9, v4
	.loc	1 76 38                         ; kl_div_aot.py:76:38
	v_ashrrev_i32_e32 v5, 31, v4
	.loc	1 76 25 is_stmt 0               ; kl_div_aot.py:76:25
	s_and_saveexec_b64 s[10:11], s[30:31]
	s_cbranch_execz .LBB0_15
; %bb.14:                               ;   in Loop: Header=BB0_3 Depth=1
	.loc	1 76 38                         ; kl_div_aot.py:76:38
	v_lshl_add_u64 v[6:7], v[4:5], 2, s[34:35]
	.loc	1 76 25                         ; kl_div_aot.py:76:25
	global_load_dword v31, v[6:7], off
.LBB0_15:                               ;   in Loop: Header=BB0_3 Depth=1
	.loc	1 0 25                          ; kl_div_aot.py:0:25
	s_or_b64 exec, exec, s[10:11]
	.loc	1 73 22 is_stmt 1               ; kl_div_aot.py:73:22
	v_add_u32_e32 v6, 0x600, v0
	.loc	1 76 25                         ; kl_div_aot.py:76:25
	v_mov_b32_e32 v33, 0
	.loc	1 74 25                         ; kl_div_aot.py:74:25
	v_cmp_gt_i32_e64 s[10:11], s9, v6
	.loc	1 76 38                         ; kl_div_aot.py:76:38
	v_ashrrev_i32_e32 v7, 31, v6
	v_mov_b32_e32 v34, v33
	.loc	1 76 25 is_stmt 0               ; kl_div_aot.py:76:25
	s_and_saveexec_b64 s[12:13], s[10:11]
	s_cbranch_execz .LBB0_17
; %bb.16:                               ;   in Loop: Header=BB0_3 Depth=1
	.loc	1 76 38                         ; kl_div_aot.py:76:38
	v_lshl_add_u64 v[8:9], v[6:7], 2, s[34:35]
	.loc	1 76 25                         ; kl_div_aot.py:76:25
	global_load_dword v34, v[8:9], off
.LBB0_17:                               ;   in Loop: Header=BB0_3 Depth=1
	.loc	1 0 25                          ; kl_div_aot.py:0:25
	s_or_b64 exec, exec, s[12:13]
	.loc	1 73 22 is_stmt 1               ; kl_div_aot.py:73:22
	v_add_u32_e32 v8, 0x700, v0
	.loc	1 74 25                         ; kl_div_aot.py:74:25
	v_cmp_gt_i32_e64 s[12:13], s9, v8
	.loc	1 76 38                         ; kl_div_aot.py:76:38
	v_ashrrev_i32_e32 v9, 31, v8
	.loc	1 76 25 is_stmt 0               ; kl_div_aot.py:76:25
	s_and_saveexec_b64 s[14:15], s[12:13]
	s_cbranch_execz .LBB0_19
; %bb.18:                               ;   in Loop: Header=BB0_3 Depth=1
	.loc	1 76 38                         ; kl_div_aot.py:76:38
	v_lshl_add_u64 v[10:11], v[8:9], 2, s[34:35]
	.loc	1 76 25                         ; kl_div_aot.py:76:25
	global_load_dword v33, v[10:11], off
.LBB0_19:                               ;   in Loop: Header=BB0_3 Depth=1
	.loc	1 0 25                          ; kl_div_aot.py:0:25
	;; [unrolled: 37-line block ×5, first 2 shown]
	s_or_b64 exec, exec, s[26:27]
	.loc	1 73 22 is_stmt 1               ; kl_div_aot.py:73:22
	v_add_u32_e32 v22, 0xe00, v0
	.loc	1 76 25                         ; kl_div_aot.py:76:25
	v_mov_b32_e32 v41, 0
	.loc	1 74 25                         ; kl_div_aot.py:74:25
	v_cmp_gt_i32_e64 s[26:27], s9, v22
	.loc	1 76 38                         ; kl_div_aot.py:76:38
	v_ashrrev_i32_e32 v23, 31, v22
	v_mov_b32_e32 v42, v41
	.loc	1 76 25 is_stmt 0               ; kl_div_aot.py:76:25
	s_and_saveexec_b64 s[28:29], s[26:27]
	s_cbranch_execz .LBB0_33
; %bb.32:                               ;   in Loop: Header=BB0_3 Depth=1
	.loc	1 76 38                         ; kl_div_aot.py:76:38
	v_lshl_add_u64 v[24:25], v[22:23], 2, s[34:35]
	.loc	1 76 25                         ; kl_div_aot.py:76:25
	global_load_dword v42, v[24:25], off
.LBB0_33:                               ;   in Loop: Header=BB0_3 Depth=1
	.loc	1 0 25                          ; kl_div_aot.py:0:25
	s_or_b64 exec, exec, s[28:29]
	.loc	1 74 25 is_stmt 1               ; kl_div_aot.py:74:25
	v_add_u32_e32 v24, 0xf00, v0
	v_cmp_gt_i32_e64 s[28:29], s9, v24
	.loc	1 76 38                         ; kl_div_aot.py:76:38
	v_ashrrev_i32_e32 v25, 31, v24
	.loc	1 76 25 is_stmt 0               ; kl_div_aot.py:76:25
	s_and_saveexec_b64 s[38:39], s[28:29]
	s_cbranch_execnz .LBB0_50
; %bb.34:                               ;   in Loop: Header=BB0_3 Depth=1
	.loc	1 0 25                          ; kl_div_aot.py:0:25
	s_or_b64 exec, exec, s[38:39]
	.loc	1 83 33 is_stmt 1               ; kl_div_aot.py:83:33
	v_lshl_add_u64 v[0:1], v[0:1], 2, s[36:37]
	.loc	1 83 42 is_stmt 0               ; kl_div_aot.py:83:42
	s_and_saveexec_b64 s[38:39], vcc
	s_cbranch_execnz .LBB0_51
.LBB0_35:                               ;   in Loop: Header=BB0_3 Depth=1
	.loc	1 0 42                          ; kl_div_aot.py:0:42
	s_or_b64 exec, exec, s[38:39]
	.loc	1 83 42                         ; kl_div_aot.py:83:42
	s_and_saveexec_b64 s[38:39], s[0:1]
	s_cbranch_execnz .LBB0_52
.LBB0_36:                               ;   in Loop: Header=BB0_3 Depth=1
	.loc	1 0 42                          ; kl_div_aot.py:0:42
	s_or_b64 exec, exec, s[38:39]
	.loc	1 83 42                         ; kl_div_aot.py:83:42
	s_and_saveexec_b64 s[0:1], s[2:3]
	s_cbranch_execnz .LBB0_53
.LBB0_37:                               ;   in Loop: Header=BB0_3 Depth=1
	.loc	1 0 42                          ; kl_div_aot.py:0:42
	s_or_b64 exec, exec, s[0:1]
	.loc	1 83 42                         ; kl_div_aot.py:83:42
	s_and_saveexec_b64 s[0:1], s[4:5]
	s_cbranch_execnz .LBB0_54
.LBB0_38:                               ;   in Loop: Header=BB0_3 Depth=1
	.loc	1 0 42                          ; kl_div_aot.py:0:42
	s_or_b64 exec, exec, s[0:1]
	.loc	1 83 42                         ; kl_div_aot.py:83:42
	s_and_saveexec_b64 s[0:1], s[6:7]
	s_cbranch_execnz .LBB0_55
.LBB0_39:                               ;   in Loop: Header=BB0_3 Depth=1
	.loc	1 0 42                          ; kl_div_aot.py:0:42
	s_or_b64 exec, exec, s[0:1]
	.loc	1 83 42                         ; kl_div_aot.py:83:42
	s_and_saveexec_b64 s[0:1], s[30:31]
	s_cbranch_execnz .LBB0_56
.LBB0_40:                               ;   in Loop: Header=BB0_3 Depth=1
	.loc	1 0 42                          ; kl_div_aot.py:0:42
	s_or_b64 exec, exec, s[0:1]
	.loc	1 83 42                         ; kl_div_aot.py:83:42
	s_and_saveexec_b64 s[0:1], s[10:11]
	s_cbranch_execnz .LBB0_57
.LBB0_41:                               ;   in Loop: Header=BB0_3 Depth=1
	.loc	1 0 42                          ; kl_div_aot.py:0:42
	s_or_b64 exec, exec, s[0:1]
	.loc	1 83 42                         ; kl_div_aot.py:83:42
	s_and_saveexec_b64 s[0:1], s[12:13]
	s_cbranch_execnz .LBB0_58
.LBB0_42:                               ;   in Loop: Header=BB0_3 Depth=1
	.loc	1 0 42                          ; kl_div_aot.py:0:42
	s_or_b64 exec, exec, s[0:1]
	.loc	1 83 42                         ; kl_div_aot.py:83:42
	s_and_saveexec_b64 s[0:1], s[14:15]
	s_cbranch_execnz .LBB0_59
.LBB0_43:                               ;   in Loop: Header=BB0_3 Depth=1
	.loc	1 0 42                          ; kl_div_aot.py:0:42
	s_or_b64 exec, exec, s[0:1]
	.loc	1 83 42                         ; kl_div_aot.py:83:42
	s_and_saveexec_b64 s[0:1], s[16:17]
	s_cbranch_execnz .LBB0_60
.LBB0_44:                               ;   in Loop: Header=BB0_3 Depth=1
	.loc	1 0 42                          ; kl_div_aot.py:0:42
	s_or_b64 exec, exec, s[0:1]
	.loc	1 83 42                         ; kl_div_aot.py:83:42
	s_and_saveexec_b64 s[0:1], s[18:19]
	s_cbranch_execnz .LBB0_61
.LBB0_45:                               ;   in Loop: Header=BB0_3 Depth=1
	.loc	1 0 42                          ; kl_div_aot.py:0:42
	s_or_b64 exec, exec, s[0:1]
	.loc	1 83 42                         ; kl_div_aot.py:83:42
	s_and_saveexec_b64 s[0:1], s[20:21]
	s_cbranch_execnz .LBB0_62
.LBB0_46:                               ;   in Loop: Header=BB0_3 Depth=1
	.loc	1 0 42                          ; kl_div_aot.py:0:42
	s_or_b64 exec, exec, s[0:1]
	.loc	1 83 42                         ; kl_div_aot.py:83:42
	s_and_saveexec_b64 s[0:1], s[22:23]
	s_cbranch_execnz .LBB0_63
.LBB0_47:                               ;   in Loop: Header=BB0_3 Depth=1
	.loc	1 0 42                          ; kl_div_aot.py:0:42
	s_or_b64 exec, exec, s[0:1]
	.loc	1 83 42                         ; kl_div_aot.py:83:42
	s_and_saveexec_b64 s[0:1], s[24:25]
	s_cbranch_execnz .LBB0_64
.LBB0_48:                               ;   in Loop: Header=BB0_3 Depth=1
	.loc	1 0 42                          ; kl_div_aot.py:0:42
	s_or_b64 exec, exec, s[0:1]
	.loc	1 83 42                         ; kl_div_aot.py:83:42
	s_and_saveexec_b64 s[0:1], s[26:27]
	s_cbranch_execnz .LBB0_65
.LBB0_49:                               ;   in Loop: Header=BB0_3 Depth=1
	.loc	1 0 42                          ; kl_div_aot.py:0:42
	s_or_b64 exec, exec, s[0:1]
	.loc	1 83 42                         ; kl_div_aot.py:83:42
	s_and_saveexec_b64 s[0:1], s[28:29]
	s_cbranch_execz .LBB0_2
	s_branch .LBB0_66
.LBB0_50:                               ;   in Loop: Header=BB0_3 Depth=1
	.loc	1 76 38 is_stmt 1               ; kl_div_aot.py:76:38
	v_lshl_add_u64 v[44:45], v[24:25], 2, s[34:35]
	.loc	1 76 25 is_stmt 0               ; kl_div_aot.py:76:25
	global_load_dword v41, v[44:45], off
	s_or_b64 exec, exec, s[38:39]
	.loc	1 83 33 is_stmt 1               ; kl_div_aot.py:83:33
	v_lshl_add_u64 v[0:1], v[0:1], 2, s[36:37]
	.loc	1 83 42 is_stmt 0               ; kl_div_aot.py:83:42
	s_and_saveexec_b64 s[38:39], vcc
	s_cbranch_execz .LBB0_35
.LBB0_51:                               ;   in Loop: Header=BB0_3 Depth=1
	.loc	1 0 42                          ; kl_div_aot.py:0:42
	s_waitcnt vmcnt(0)
	v_xor_b32_e32 v28, 0x80000000, v28
	.loc	1 83 42                         ; kl_div_aot.py:83:42
	global_store_dword v[0:1], v28, off
	s_or_b64 exec, exec, s[38:39]
	s_and_saveexec_b64 s[38:39], s[0:1]
	s_cbranch_execz .LBB0_36
.LBB0_52:                               ;   in Loop: Header=BB0_3 Depth=1
	.loc	1 79 27 is_stmt 1               ; kl_div_aot.py:79:27
	s_waitcnt vmcnt(0)
	v_xor_b32_e32 v27, 0x80000000, v27
	.loc	1 83 42                         ; kl_div_aot.py:83:42
	global_store_dword v[0:1], v27, off offset:1024
	s_or_b64 exec, exec, s[38:39]
	s_and_saveexec_b64 s[0:1], s[2:3]
	s_cbranch_execz .LBB0_37
.LBB0_53:                               ;   in Loop: Header=BB0_3 Depth=1
	.loc	1 79 27                         ; kl_div_aot.py:79:27
	s_waitcnt vmcnt(0)
	v_xor_b32_e32 v27, 0x80000000, v30
	.loc	1 83 42                         ; kl_div_aot.py:83:42
	global_store_dword v[0:1], v27, off offset:2048
	s_or_b64 exec, exec, s[0:1]
	s_and_saveexec_b64 s[0:1], s[4:5]
	s_cbranch_execz .LBB0_38
.LBB0_54:                               ;   in Loop: Header=BB0_3 Depth=1
	.loc	1 79 27                         ; kl_div_aot.py:79:27
	s_waitcnt vmcnt(0)
	v_xor_b32_e32 v27, 0x80000000, v29
	.loc	1 83 42                         ; kl_div_aot.py:83:42
	global_store_dword v[0:1], v27, off offset:3072
	s_or_b64 exec, exec, s[0:1]
	s_and_saveexec_b64 s[0:1], s[6:7]
	s_cbranch_execz .LBB0_39
.LBB0_55:                               ;   in Loop: Header=BB0_3 Depth=1
	.loc	1 83 33 is_stmt 0               ; kl_div_aot.py:83:33
	v_lshl_add_u64 v[0:1], v[2:3], 2, s[36:37]
	.loc	1 79 27 is_stmt 1               ; kl_div_aot.py:79:27
	s_waitcnt vmcnt(0)
	v_xor_b32_e32 v2, 0x80000000, v32
	.loc	1 83 42                         ; kl_div_aot.py:83:42
	global_store_dword v[0:1], v2, off
	s_or_b64 exec, exec, s[0:1]
	s_and_saveexec_b64 s[0:1], s[30:31]
	s_cbranch_execz .LBB0_40
.LBB0_56:                               ;   in Loop: Header=BB0_3 Depth=1
	.loc	1 83 33 is_stmt 0               ; kl_div_aot.py:83:33
	v_lshl_add_u64 v[0:1], v[4:5], 2, s[36:37]
	.loc	1 79 27 is_stmt 1               ; kl_div_aot.py:79:27
	s_waitcnt vmcnt(0)
	v_xor_b32_e32 v2, 0x80000000, v31
	.loc	1 83 42                         ; kl_div_aot.py:83:42
	global_store_dword v[0:1], v2, off
	s_or_b64 exec, exec, s[0:1]
	s_and_saveexec_b64 s[0:1], s[10:11]
	s_cbranch_execz .LBB0_41
.LBB0_57:                               ;   in Loop: Header=BB0_3 Depth=1
	.loc	1 83 33 is_stmt 0               ; kl_div_aot.py:83:33
	v_lshl_add_u64 v[0:1], v[6:7], 2, s[36:37]
	.loc	1 79 27 is_stmt 1               ; kl_div_aot.py:79:27
	s_waitcnt vmcnt(0)
	v_xor_b32_e32 v2, 0x80000000, v34
	.loc	1 83 42                         ; kl_div_aot.py:83:42
	global_store_dword v[0:1], v2, off
	s_or_b64 exec, exec, s[0:1]
	s_and_saveexec_b64 s[0:1], s[12:13]
	s_cbranch_execz .LBB0_42
.LBB0_58:                               ;   in Loop: Header=BB0_3 Depth=1
	.loc	1 83 33 is_stmt 0               ; kl_div_aot.py:83:33
	v_lshl_add_u64 v[0:1], v[8:9], 2, s[36:37]
	.loc	1 79 27 is_stmt 1               ; kl_div_aot.py:79:27
	s_waitcnt vmcnt(0)
	v_xor_b32_e32 v2, 0x80000000, v33
	.loc	1 83 42                         ; kl_div_aot.py:83:42
	global_store_dword v[0:1], v2, off
	s_or_b64 exec, exec, s[0:1]
	s_and_saveexec_b64 s[0:1], s[14:15]
	s_cbranch_execz .LBB0_43
.LBB0_59:                               ;   in Loop: Header=BB0_3 Depth=1
	.loc	1 83 33 is_stmt 0               ; kl_div_aot.py:83:33
	v_lshl_add_u64 v[0:1], v[10:11], 2, s[36:37]
	.loc	1 79 27 is_stmt 1               ; kl_div_aot.py:79:27
	s_waitcnt vmcnt(0)
	v_xor_b32_e32 v2, 0x80000000, v36
	.loc	1 83 42                         ; kl_div_aot.py:83:42
	global_store_dword v[0:1], v2, off
	s_or_b64 exec, exec, s[0:1]
	s_and_saveexec_b64 s[0:1], s[16:17]
	s_cbranch_execz .LBB0_44
.LBB0_60:                               ;   in Loop: Header=BB0_3 Depth=1
	.loc	1 83 33 is_stmt 0               ; kl_div_aot.py:83:33
	v_lshl_add_u64 v[0:1], v[12:13], 2, s[36:37]
	.loc	1 79 27 is_stmt 1               ; kl_div_aot.py:79:27
	s_waitcnt vmcnt(0)
	v_xor_b32_e32 v2, 0x80000000, v35
	.loc	1 83 42                         ; kl_div_aot.py:83:42
	global_store_dword v[0:1], v2, off
	s_or_b64 exec, exec, s[0:1]
	s_and_saveexec_b64 s[0:1], s[18:19]
	s_cbranch_execz .LBB0_45
.LBB0_61:                               ;   in Loop: Header=BB0_3 Depth=1
	.loc	1 83 33 is_stmt 0               ; kl_div_aot.py:83:33
	v_lshl_add_u64 v[0:1], v[14:15], 2, s[36:37]
	.loc	1 79 27 is_stmt 1               ; kl_div_aot.py:79:27
	s_waitcnt vmcnt(0)
	v_xor_b32_e32 v2, 0x80000000, v38
	.loc	1 83 42                         ; kl_div_aot.py:83:42
	global_store_dword v[0:1], v2, off
	s_or_b64 exec, exec, s[0:1]
	s_and_saveexec_b64 s[0:1], s[20:21]
	s_cbranch_execz .LBB0_46
.LBB0_62:                               ;   in Loop: Header=BB0_3 Depth=1
	.loc	1 83 33 is_stmt 0               ; kl_div_aot.py:83:33
	v_lshl_add_u64 v[0:1], v[16:17], 2, s[36:37]
	.loc	1 79 27 is_stmt 1               ; kl_div_aot.py:79:27
	s_waitcnt vmcnt(0)
	v_xor_b32_e32 v2, 0x80000000, v37
	.loc	1 83 42                         ; kl_div_aot.py:83:42
	global_store_dword v[0:1], v2, off
	s_or_b64 exec, exec, s[0:1]
	s_and_saveexec_b64 s[0:1], s[22:23]
	s_cbranch_execz .LBB0_47
.LBB0_63:                               ;   in Loop: Header=BB0_3 Depth=1
	.loc	1 83 33 is_stmt 0               ; kl_div_aot.py:83:33
	v_lshl_add_u64 v[0:1], v[18:19], 2, s[36:37]
	.loc	1 79 27 is_stmt 1               ; kl_div_aot.py:79:27
	s_waitcnt vmcnt(0)
	v_xor_b32_e32 v2, 0x80000000, v40
	.loc	1 83 42                         ; kl_div_aot.py:83:42
	global_store_dword v[0:1], v2, off
	s_or_b64 exec, exec, s[0:1]
	s_and_saveexec_b64 s[0:1], s[24:25]
	s_cbranch_execz .LBB0_48
.LBB0_64:                               ;   in Loop: Header=BB0_3 Depth=1
	.loc	1 83 33 is_stmt 0               ; kl_div_aot.py:83:33
	v_lshl_add_u64 v[0:1], v[20:21], 2, s[36:37]
	.loc	1 79 27 is_stmt 1               ; kl_div_aot.py:79:27
	s_waitcnt vmcnt(0)
	v_xor_b32_e32 v2, 0x80000000, v39
	.loc	1 83 42                         ; kl_div_aot.py:83:42
	global_store_dword v[0:1], v2, off
	s_or_b64 exec, exec, s[0:1]
	s_and_saveexec_b64 s[0:1], s[26:27]
	s_cbranch_execz .LBB0_49
.LBB0_65:                               ;   in Loop: Header=BB0_3 Depth=1
	.loc	1 83 33 is_stmt 0               ; kl_div_aot.py:83:33
	v_lshl_add_u64 v[0:1], v[22:23], 2, s[36:37]
	.loc	1 79 27 is_stmt 1               ; kl_div_aot.py:79:27
	s_waitcnt vmcnt(0)
	v_xor_b32_e32 v2, 0x80000000, v42
	.loc	1 83 42                         ; kl_div_aot.py:83:42
	global_store_dword v[0:1], v2, off
	s_or_b64 exec, exec, s[0:1]
	s_and_saveexec_b64 s[0:1], s[28:29]
	s_cbranch_execz .LBB0_2
.LBB0_66:                               ;   in Loop: Header=BB0_3 Depth=1
	.loc	1 83 33 is_stmt 0               ; kl_div_aot.py:83:33
	v_lshl_add_u64 v[0:1], v[24:25], 2, s[36:37]
	.loc	1 79 27 is_stmt 1               ; kl_div_aot.py:79:27
	s_waitcnt vmcnt(0)
	v_xor_b32_e32 v2, 0x80000000, v41
	.loc	1 83 42                         ; kl_div_aot.py:83:42
	global_store_dword v[0:1], v2, off
	s_branch .LBB0_2
.LBB0_67:                               ; %._crit_edge
	.loc	1 72 4                          ; kl_div_aot.py:72:4
	s_endpgm
.Ltmp2:
	.section	.rodata,"a",@progbits
	.p2align	6, 0x0
	.amdhsa_kernel _kldiv_kernel_backward
		.amdhsa_group_segment_fixed_size 0
		.amdhsa_private_segment_fixed_size 0
		.amdhsa_kernarg_size 48
		.amdhsa_user_sgpr_count 14
		.amdhsa_user_sgpr_dispatch_ptr 0
		.amdhsa_user_sgpr_queue_ptr 0
		.amdhsa_user_sgpr_kernarg_segment_ptr 1
		.amdhsa_user_sgpr_dispatch_id 0
		.amdhsa_user_sgpr_kernarg_preload_length 12
		.amdhsa_user_sgpr_kernarg_preload_offset 0
		.amdhsa_user_sgpr_private_segment_size 0
		.amdhsa_uses_dynamic_stack 0
		.amdhsa_enable_private_segment 0
		.amdhsa_system_sgpr_workgroup_id_x 1
		.amdhsa_system_sgpr_workgroup_id_y 0
		.amdhsa_system_sgpr_workgroup_id_z 0
		.amdhsa_system_sgpr_workgroup_info 0
		.amdhsa_system_vgpr_workitem_id 0
		.amdhsa_next_free_vgpr 46
		.amdhsa_next_free_sgpr 40
		.amdhsa_accum_offset 48
		.amdhsa_reserve_vcc 1
		.amdhsa_reserve_xnack_mask 1
		.amdhsa_float_round_mode_32 0
		.amdhsa_float_round_mode_16_64 0
		.amdhsa_float_denorm_mode_32 3
		.amdhsa_float_denorm_mode_16_64 3
		.amdhsa_dx10_clamp 1
		.amdhsa_ieee_mode 1
		.amdhsa_fp16_overflow 0
		.amdhsa_tg_split 0
		.amdhsa_exception_fp_ieee_invalid_op 0
		.amdhsa_exception_fp_denorm_src 0
		.amdhsa_exception_fp_ieee_div_zero 0
		.amdhsa_exception_fp_ieee_overflow 0
		.amdhsa_exception_fp_ieee_underflow 0
		.amdhsa_exception_fp_ieee_inexact 0
		.amdhsa_exception_int_div_zero 0
	.end_amdhsa_kernel
	.text
.Lfunc_end0:
	.size	_kldiv_kernel_backward, .Lfunc_end0-_kldiv_kernel_backward
	.cfi_endproc
                                        ; -- End function
	.set _kldiv_kernel_backward.num_vgpr, 46
	.set _kldiv_kernel_backward.num_agpr, 0
	.set _kldiv_kernel_backward.numbered_sgpr, 40
	.set _kldiv_kernel_backward.num_named_barrier, 0
	.set _kldiv_kernel_backward.private_seg_size, 0
	.set _kldiv_kernel_backward.uses_vcc, 1
	.set _kldiv_kernel_backward.uses_flat_scratch, 0
	.set _kldiv_kernel_backward.has_dyn_sized_stack, 0
	.set _kldiv_kernel_backward.has_recursion, 0
	.set _kldiv_kernel_backward.has_indirect_call, 0
	.section	.AMDGPU.csdata,"",@progbits
; Kernel info:
; codeLenInByte = 1964
; TotalNumSgprs: 46
; NumVgprs: 46
; NumAgprs: 0
; TotalNumVgprs: 46
; ScratchSize: 0
; MemoryBound: 0
; FloatMode: 240
; IeeeMode: 1
; LDSByteSize: 0 bytes/workgroup (compile time only)
; SGPRBlocks: 5
; VGPRBlocks: 5
; NumSGPRsForWavesPerEU: 46
; NumVGPRsForWavesPerEU: 46
; AccumOffset: 48
; Occupancy: 8
; WaveLimiterHint : 0
; COMPUTE_PGM_RSRC2:SCRATCH_EN: 0
; COMPUTE_PGM_RSRC2:USER_SGPR: 14
; COMPUTE_PGM_RSRC2:TRAP_HANDLER: 0
; COMPUTE_PGM_RSRC2:TGID_X_EN: 1
; COMPUTE_PGM_RSRC2:TGID_Y_EN: 0
; COMPUTE_PGM_RSRC2:TGID_Z_EN: 0
; COMPUTE_PGM_RSRC2:TIDIG_COMP_CNT: 0
; COMPUTE_PGM_RSRC3_GFX90A:ACCUM_OFFSET: 11
; COMPUTE_PGM_RSRC3_GFX90A:TG_SPLIT: 0
	.text
	.p2alignl 6, 3212836864
	.fill 256, 4, 3212836864
	.section	.AMDGPU.gpr_maximums,"",@progbits
	.set amdgpu.max_num_vgpr, 0
	.set amdgpu.max_num_agpr, 0
	.set amdgpu.max_num_sgpr, 0
	.set amdgpu.max_num_named_barrier, 0
	.text
	.section	.debug_abbrev,"",@progbits
	.byte	1                               ; Abbreviation Code
	.byte	17                              ; DW_TAG_compile_unit
	.byte	0                               ; DW_CHILDREN_no
	.byte	37                              ; DW_AT_producer
	.byte	14                              ; DW_FORM_strp
	.byte	19                              ; DW_AT_language
	.byte	5                               ; DW_FORM_data2
	.byte	3                               ; DW_AT_name
	.byte	14                              ; DW_FORM_strp
	.byte	16                              ; DW_AT_stmt_list
	.byte	23                              ; DW_FORM_sec_offset
	.byte	27                              ; DW_AT_comp_dir
	.byte	14                              ; DW_FORM_strp
	.byte	17                              ; DW_AT_low_pc
	.byte	1                               ; DW_FORM_addr
	.byte	18                              ; DW_AT_high_pc
	.byte	6                               ; DW_FORM_data4
	.byte	0                               ; EOM(1)
	.byte	0                               ; EOM(2)
	;; [unrolled: 1-line block ×3, first 2 shown]
	.section	.debug_info,"",@progbits
.Lcu_begin0:
	.long	.Ldebug_info_end0-.Ldebug_info_start0 ; Length of Unit
.Ldebug_info_start0:
	.short	4                               ; DWARF version number
	.long	.debug_abbrev                   ; Offset Into Abbrev. Section
	.byte	8                               ; Address Size (in bytes)
	.byte	1                               ; Abbrev [1] 0xb:0x1f DW_TAG_compile_unit
	.long	.Linfo_string0                  ; DW_AT_producer
	.short	2                               ; DW_AT_language
	.long	.Linfo_string1                  ; DW_AT_name
	.long	.Lline_table_start0             ; DW_AT_stmt_list
	.long	.Linfo_string2                  ; DW_AT_comp_dir
	.quad	.Lfunc_begin0                   ; DW_AT_low_pc
	.long	.Lfunc_end0-.Lfunc_begin0       ; DW_AT_high_pc
.Ldebug_info_end0:
	.section	.debug_str,"MS",@progbits,1
.Linfo_string0:
	.asciz	"triton"                        ; string offset=0
.Linfo_string1:
	.asciz	"kl_div_aot.py"                 ; string offset=7
.Linfo_string2:
	.asciz	"/root/src/amdgpu-assembly/repos/linkedin__Liger-Kernel/triton_aot_kernels" ; string offset=21
	.section	".note.GNU-stack","",@progbits
	.amdgpu_metadata
---
amdhsa.kernels:
  - .agpr_count:     0
    .args:
      - .address_space:  global
        .offset:         0
        .size:           8
        .value_kind:     global_buffer
      - .offset:         8
        .size:           4
        .value_kind:     by_value
      - .address_space:  global
        .offset:         16
        .size:           8
        .value_kind:     global_buffer
      - .offset:         24
        .size:           4
        .value_kind:     by_value
      - .offset:         28
        .size:           4
        .value_kind:     by_value
      - .address_space:  global
        .offset:         32
        .size:           8
        .value_kind:     global_buffer
      - .address_space:  global
        .offset:         40
        .size:           8
        .value_kind:     global_buffer
    .group_segment_fixed_size: 0
    .kernarg_segment_align: 8
    .kernarg_segment_size: 48
    .max_flat_workgroup_size: 256
    .name:           _kldiv_kernel_backward
    .private_segment_fixed_size: 0
    .sgpr_count:     46
    .sgpr_spill_count: 0
    .symbol:         _kldiv_kernel_backward.kd
    .uniform_work_group_size: 1
    .uses_dynamic_stack: false
    .vgpr_count:     46
    .vgpr_spill_count: 0
    .wavefront_size: 64
amdhsa.target:   amdgcn-amd-amdhsa--gfx950
amdhsa.version:
  - 1
  - 2
...

	.end_amdgpu_metadata
	.section	.debug_line,"",@progbits
.Lline_table_start0:
